;; amdgpu-corpus repo=zjin-lcf/HeCBench kind=compiled arch=gfx90a opt=O3
	.text
	.amdgcn_target "amdgcn-amd-amdhsa--gfx90a"
	.amdhsa_code_object_version 6
	.section	.text._Z8findTopKIfLi2048ELi256ELi64EEvPiS0_PKT_fimm,"axG",@progbits,_Z8findTopKIfLi2048ELi256ELi64EEvPiS0_PKT_fimm,comdat
	.protected	_Z8findTopKIfLi2048ELi256ELi64EEvPiS0_PKT_fimm ; -- Begin function _Z8findTopKIfLi2048ELi256ELi64EEvPiS0_PKT_fimm
	.globl	_Z8findTopKIfLi2048ELi256ELi64EEvPiS0_PKT_fimm
	.p2align	8
	.type	_Z8findTopKIfLi2048ELi256ELi64EEvPiS0_PKT_fimm,@function
_Z8findTopKIfLi2048ELi256ELi64EEvPiS0_PKT_fimm: ; @_Z8findTopKIfLi2048ELi256ELi64EEvPiS0_PKT_fimm
; %bb.0:
	s_load_dwordx8 s[16:23], s[4:5], 0x10
	s_load_dwordx4 s[24:27], s[4:5], 0x0
	v_mov_b32_e32 v1, 0
	v_lshlrev_b32_e32 v8, 2, v0
	v_lshlrev_b32_e32 v7, 2, v0
	s_waitcnt lgkmcnt(0)
	s_mul_i32 s0, s7, s21
	s_mul_hi_u32 s1, s7, s20
	s_add_i32 s21, s1, s0
	s_mul_i32 s20, s7, s20
	s_add_u32 s30, s20, s6
	s_addc_u32 s31, s21, 0
	s_mov_b32 s7, 0
	v_cmp_gt_u64_e64 s[0:1], s[22:23], v[0:1]
	v_sub_f32_e64 v6, 1.0, s18
	s_mul_i32 s33, s22, s31
	s_mul_hi_u32 s34, s22, s30
	s_mul_i32 s35, s23, s30
	s_mul_i32 s14, s22, s30
	ds_write2st64_b32 v8, v1, v1 offset1:4
	ds_write2st64_b32 v8, v1, v1 offset0:8 offset1:12
	ds_write2st64_b32 v8, v1, v1 offset0:16 offset1:20
	;; [unrolled: 1-line block ×3, first 2 shown]
	s_waitcnt lgkmcnt(0)
	s_barrier
	s_and_saveexec_b64 s[4:5], s[0:1]
	s_cbranch_execz .LBB0_6
; %bb.1:
	s_add_i32 s2, s34, s33
	s_add_i32 s15, s2, s35
	s_lshl_b64 s[2:3], s[14:15], 2
	s_add_u32 s2, s16, s2
	s_addc_u32 s3, s17, s3
	v_mov_b32_e32 v3, s3
	v_add_co_u32_e32 v2, vcc, s2, v7
	v_addc_co_u32_e32 v3, vcc, 0, v3, vcc
	s_mov_b64 s[8:9], 0
	v_mov_b32_e32 v9, 1
	v_pk_mov_b32 v[4:5], v[0:1], v[0:1] op_sel:[0,1]
	s_branch .LBB0_3
.LBB0_2:                                ;   in Loop: Header=BB0_3 Depth=1
	s_or_b64 exec, exec, s[2:3]
	v_add_co_u32_e32 v4, vcc, 0x100, v4
	v_addc_co_u32_e32 v5, vcc, 0, v5, vcc
	v_add_co_u32_e32 v2, vcc, 0x400, v2
	v_cmp_le_u64_e64 s[2:3], s[22:23], v[4:5]
	s_or_b64 s[8:9], s[2:3], s[8:9]
	v_addc_co_u32_e32 v3, vcc, 0, v3, vcc
	s_andn2_b64 exec, exec, s[8:9]
	s_cbranch_execz .LBB0_6
.LBB0_3:                                ; =>This Inner Loop Header: Depth=1
	global_load_dword v10, v[2:3], off
	s_waitcnt vmcnt(0)
	v_cmp_lt_f32_e32 vcc, s18, v10
	s_and_saveexec_b64 s[2:3], vcc
	s_cbranch_execz .LBB0_2
; %bb.4:                                ;   in Loop: Header=BB0_3 Depth=1
	v_subrev_f32_e32 v10, s18, v10
	v_div_scale_f32 v11, s[10:11], v6, v6, v10
	v_rcp_f32_e32 v12, v11
	v_div_scale_f32 v13, vcc, v10, v6, v10
	v_fma_f32 v14, -v11, v12, 1.0
	v_fmac_f32_e32 v12, v14, v12
	v_mul_f32_e32 v14, v13, v12
	v_fma_f32 v15, -v11, v14, v13
	v_fmac_f32_e32 v14, v15, v12
	v_fma_f32 v11, -v11, v14, v13
	v_div_fmas_f32 v11, v11, v12, v14
	v_div_fixup_f32 v10, v11, v6, v10
	v_mul_f32_e32 v10, 0x45000000, v10
	v_cvt_i32_f32_e32 v10, v10
	v_cmp_lt_i32_e32 vcc, 0, v10
	s_and_b64 exec, exec, vcc
	s_cbranch_execz .LBB0_2
; %bb.5:                                ;   in Loop: Header=BB0_3 Depth=1
	v_min_u32_e32 v10, 0x7ff, v10
	v_lshl_add_u32 v10, v10, 2, -4
	ds_add_u32 v10, v9
	s_branch .LBB0_2
.LBB0_6:
	s_or_b64 exec, exec, s[4:5]
	v_cmp_gt_u32_e32 vcc, 64, v0
	s_waitcnt lgkmcnt(0)
	s_barrier
	s_and_saveexec_b64 s[28:29], vcc
	s_cbranch_execz .LBB0_8
; %bb.7:
	v_mbcnt_lo_u32_b32 v2, -1, 0
	v_mbcnt_hi_u32_b32 v5, -1, v2
	v_and_b32_e32 v11, 63, v5
	v_cmp_gt_u32_e32 vcc, 32, v11
	ds_read2st64_b32 v[12:13], v8 offset0:30 offset1:31
	ds_read2st64_b32 v[14:15], v8 offset0:28 offset1:29
	v_cndmask_b32_e64 v2, 0, 1, vcc
	v_cmp_gt_u32_e32 vcc, 48, v11
	v_cndmask_b32_e64 v3, 0, 1, vcc
	v_cmp_ne_u32_e32 vcc, 63, v11
	v_addc_co_u32_e32 v4, vcc, 0, v5, vcc
	v_lshlrev_b32_e32 v4, 2, v4
	s_waitcnt lgkmcnt(1)
	ds_bpermute_b32 v10, v4, v13
	v_cmp_gt_u32_e32 vcc, 62, v11
	v_cndmask_b32_e64 v9, 0, 1, vcc
	v_cmp_eq_u32_e32 vcc, 63, v0
	v_lshlrev_b32_e32 v9, 1, v9
	s_waitcnt lgkmcnt(0)
	v_cndmask_b32_e64 v10, v10, 0, vcc
	v_add_lshl_u32 v9, v9, v5, 2
	v_add_u32_e32 v13, v10, v13
	ds_bpermute_b32 v16, v9, v13
	v_cmp_gt_u32_e64 s[2:3], 60, v11
	v_cndmask_b32_e64 v10, 0, 1, s[2:3]
	v_cmp_lt_u32_e64 s[2:3], 61, v0
	v_lshlrev_b32_e32 v10, 2, v10
	s_waitcnt lgkmcnt(0)
	v_cndmask_b32_e64 v16, v16, 0, s[2:3]
	v_add_lshl_u32 v10, v10, v5, 2
	v_add_u32_e32 v13, v16, v13
	ds_bpermute_b32 v16, v10, v13
	v_cmp_gt_u32_e64 s[4:5], 56, v11
	v_cndmask_b32_e64 v11, 0, 1, s[4:5]
	v_cmp_lt_u32_e64 s[10:11], 59, v0
	v_lshlrev_b32_e32 v11, 3, v11
	s_waitcnt lgkmcnt(0)
	v_cndmask_b32_e64 v16, v16, 0, s[10:11]
	v_add_lshl_u32 v11, v11, v5, 2
	v_add_u32_e32 v13, v16, v13
	ds_bpermute_b32 v16, v11, v13
	ds_bpermute_b32 v17, v4, v12
	v_cmp_lt_u32_e64 s[8:9], 55, v0
	v_lshlrev_b32_e32 v3, 4, v3
	v_add_lshl_u32 v3, v3, v5, 2
	s_waitcnt lgkmcnt(1)
	v_cndmask_b32_e64 v16, v16, 0, s[8:9]
	v_add_u32_e32 v13, v16, v13
	s_waitcnt lgkmcnt(0)
	v_cndmask_b32_e64 v17, v17, 0, vcc
	ds_bpermute_b32 v16, v3, v13
	v_add_u32_e32 v12, v17, v12
	ds_bpermute_b32 v17, v9, v12
	v_cmp_lt_u32_e64 s[4:5], 47, v0
	v_lshlrev_b32_e32 v2, 5, v2
	s_waitcnt lgkmcnt(1)
	v_cndmask_b32_e64 v16, v16, 0, s[4:5]
	v_add_u32_e32 v16, v16, v13
	s_waitcnt lgkmcnt(0)
	v_cndmask_b32_e64 v13, v17, 0, s[2:3]
	v_add_u32_e32 v17, v13, v12
	ds_read2st64_b32 v[12:13], v8 offset0:26 offset1:27
	ds_bpermute_b32 v19, v10, v17
	ds_bpermute_b32 v20, v4, v15
	v_add_lshl_u32 v2, v2, v5, 2
	ds_bpermute_b32 v18, v2, v16
	v_cmp_lt_u32_e64 s[12:13], 31, v0
	s_waitcnt lgkmcnt(2)
	v_cndmask_b32_e64 v19, v19, 0, s[10:11]
	v_add_u32_e32 v17, v19, v17
	s_waitcnt lgkmcnt(1)
	v_cndmask_b32_e64 v20, v20, 0, vcc
	ds_bpermute_b32 v19, v11, v17
	v_add_u32_e32 v15, v20, v15
	ds_bpermute_b32 v20, v9, v15
	s_waitcnt lgkmcnt(2)
	v_cndmask_b32_e64 v18, v18, 0, s[12:13]
	v_add_u32_e32 v16, v18, v16
	s_waitcnt lgkmcnt(1)
	v_cndmask_b32_e64 v18, v19, 0, s[8:9]
	v_add_u32_e32 v17, v18, v17
	s_waitcnt lgkmcnt(0)
	v_cndmask_b32_e64 v19, v20, 0, s[2:3]
	ds_bpermute_b32 v18, v3, v17
	v_add_u32_e32 v15, v19, v15
	ds_bpermute_b32 v19, v10, v15
	v_lshlrev_b32_e32 v5, 2, v5
	v_and_b32_e32 v5, 0x100, v5
	s_waitcnt lgkmcnt(1)
	v_cndmask_b32_e64 v18, v18, 0, s[4:5]
	v_add_u32_e32 v17, v18, v17
	s_waitcnt lgkmcnt(0)
	v_cndmask_b32_e64 v19, v19, 0, s[10:11]
	ds_bpermute_b32 v18, v2, v17
	v_add_u32_e32 v15, v19, v15
	ds_bpermute_b32 v20, v5, v16
	ds_bpermute_b32 v19, v11, v15
	;; [unrolled: 1-line block ×3, first 2 shown]
	s_waitcnt lgkmcnt(3)
	v_cndmask_b32_e64 v18, v18, 0, s[12:13]
	s_waitcnt lgkmcnt(2)
	v_add3_u32 v17, v18, v17, v20
	s_waitcnt lgkmcnt(1)
	v_cndmask_b32_e64 v18, v19, 0, s[8:9]
	s_waitcnt lgkmcnt(0)
	v_cndmask_b32_e64 v19, v21, 0, vcc
	v_add_u32_e32 v15, v18, v15
	v_add_u32_e32 v14, v19, v14
	ds_bpermute_b32 v18, v3, v15
	ds_bpermute_b32 v19, v9, v14
	ds_write2st64_b32 v8, v17, v16 offset0:30 offset1:31
	ds_bpermute_b32 v17, v5, v17
	s_waitcnt lgkmcnt(3)
	v_cndmask_b32_e64 v16, v18, 0, s[4:5]
	s_waitcnt lgkmcnt(2)
	v_cndmask_b32_e64 v18, v19, 0, s[2:3]
	v_add_u32_e32 v18, v18, v14
	ds_bpermute_b32 v19, v10, v18
	v_add_u32_e32 v16, v16, v15
	ds_bpermute_b32 v15, v2, v16
	s_waitcnt lgkmcnt(1)
	v_cndmask_b32_e64 v19, v19, 0, s[10:11]
	v_add_u32_e32 v18, v19, v18
	s_waitcnt lgkmcnt(0)
	v_cndmask_b32_e64 v20, v15, 0, s[12:13]
	ds_read2st64_b32 v[14:15], v8 offset0:24 offset1:25
	ds_bpermute_b32 v21, v4, v13
	ds_bpermute_b32 v19, v11, v18
	v_add3_u32 v16, v20, v16, v17
	ds_bpermute_b32 v20, v5, v16
	s_waitcnt lgkmcnt(2)
	v_cndmask_b32_e64 v17, v21, 0, vcc
	s_waitcnt lgkmcnt(1)
	v_cndmask_b32_e64 v19, v19, 0, s[8:9]
	v_add_u32_e32 v13, v17, v13
	v_add_u32_e32 v18, v19, v18
	ds_bpermute_b32 v17, v9, v13
	ds_bpermute_b32 v19, v3, v18
	s_waitcnt lgkmcnt(1)
	v_cndmask_b32_e64 v17, v17, 0, s[2:3]
	s_waitcnt lgkmcnt(0)
	v_cndmask_b32_e64 v19, v19, 0, s[4:5]
	v_add_u32_e32 v13, v17, v13
	v_add_u32_e32 v18, v19, v18
	ds_bpermute_b32 v19, v4, v12
	ds_bpermute_b32 v17, v10, v13
	;; [unrolled: 1-line block ×3, first 2 shown]
	s_waitcnt lgkmcnt(2)
	v_cndmask_b32_e64 v19, v19, 0, vcc
	s_waitcnt lgkmcnt(1)
	v_cndmask_b32_e64 v17, v17, 0, s[10:11]
	v_add_u32_e32 v12, v19, v12
	v_add_u32_e32 v13, v17, v13
	ds_bpermute_b32 v19, v9, v12
	ds_bpermute_b32 v17, v11, v13
	s_waitcnt lgkmcnt(2)
	v_cndmask_b32_e64 v21, v21, 0, s[12:13]
	v_add3_u32 v18, v21, v18, v20
	ds_write2st64_b32 v8, v18, v16 offset0:28 offset1:29
	s_waitcnt lgkmcnt(2)
	v_cndmask_b32_e64 v19, v19, 0, s[2:3]
	s_waitcnt lgkmcnt(1)
	v_cndmask_b32_e64 v17, v17, 0, s[8:9]
	v_add_u32_e32 v12, v19, v12
	v_add_u32_e32 v13, v17, v13
	ds_bpermute_b32 v19, v10, v12
	ds_bpermute_b32 v17, v3, v13
	;; [unrolled: 1-line block ×4, first 2 shown]
	s_waitcnt lgkmcnt(3)
	v_cndmask_b32_e64 v19, v19, 0, s[10:11]
	s_waitcnt lgkmcnt(2)
	v_cndmask_b32_e64 v17, v17, 0, s[4:5]
	v_add_u32_e32 v12, v19, v12
	v_add_u32_e32 v13, v17, v13
	ds_bpermute_b32 v19, v11, v12
	ds_bpermute_b32 v17, v2, v13
	s_waitcnt lgkmcnt(1)
	v_cndmask_b32_e64 v19, v19, 0, s[8:9]
	s_waitcnt lgkmcnt(0)
	v_cndmask_b32_e64 v17, v17, 0, s[12:13]
	v_add_u32_e32 v12, v19, v12
	ds_bpermute_b32 v19, v3, v12
	v_add3_u32 v13, v17, v13, v16
	v_cndmask_b32_e64 v16, v18, 0, vcc
	v_add_u32_e32 v15, v16, v15
	ds_bpermute_b32 v16, v9, v15
	s_waitcnt lgkmcnt(1)
	v_cndmask_b32_e64 v17, v19, 0, s[4:5]
	v_add_u32_e32 v12, v17, v12
	ds_bpermute_b32 v17, v2, v12
	ds_bpermute_b32 v18, v5, v13
	s_waitcnt lgkmcnt(2)
	v_cndmask_b32_e64 v16, v16, 0, s[2:3]
	v_add_u32_e32 v15, v16, v15
	ds_bpermute_b32 v16, v10, v15
	s_waitcnt lgkmcnt(2)
	v_cndmask_b32_e64 v17, v17, 0, s[12:13]
	s_waitcnt lgkmcnt(1)
	v_add3_u32 v12, v17, v12, v18
	ds_write2st64_b32 v8, v12, v13 offset0:26 offset1:27
	ds_bpermute_b32 v17, v4, v14
	s_waitcnt lgkmcnt(2)
	v_cndmask_b32_e64 v13, v16, 0, s[10:11]
	v_add_u32_e32 v13, v13, v15
	ds_bpermute_b32 v15, v11, v13
	s_waitcnt lgkmcnt(1)
	v_cndmask_b32_e64 v16, v17, 0, vcc
	v_add_u32_e32 v14, v16, v14
	ds_bpermute_b32 v17, v5, v12
	s_waitcnt lgkmcnt(1)
	v_cndmask_b32_e64 v12, v15, 0, s[8:9]
	ds_bpermute_b32 v16, v9, v14
	v_add_u32_e32 v18, v12, v13
	ds_bpermute_b32 v15, v3, v18
	ds_read2st64_b32 v[12:13], v8 offset0:22 offset1:23
	s_waitcnt lgkmcnt(2)
	v_cndmask_b32_e64 v16, v16, 0, s[2:3]
	v_add_u32_e32 v16, v16, v14
	s_waitcnt lgkmcnt(1)
	v_cndmask_b32_e64 v20, v15, 0, s[4:5]
	ds_read2st64_b32 v[14:15], v8 offset0:20 offset1:21
	s_waitcnt lgkmcnt(1)
	ds_bpermute_b32 v21, v4, v13
	v_add_u32_e32 v18, v20, v18
	ds_bpermute_b32 v19, v10, v16
	s_waitcnt lgkmcnt(1)
	v_cndmask_b32_e64 v20, v21, 0, vcc
	v_add_u32_e32 v13, v20, v13
	ds_bpermute_b32 v20, v9, v13
	s_waitcnt lgkmcnt(1)
	v_cndmask_b32_e64 v19, v19, 0, s[10:11]
	v_add_u32_e32 v16, v19, v16
	ds_bpermute_b32 v19, v11, v16
	ds_bpermute_b32 v21, v2, v18
	s_waitcnt lgkmcnt(2)
	v_cndmask_b32_e64 v20, v20, 0, s[2:3]
	v_add_u32_e32 v13, v20, v13
	ds_bpermute_b32 v20, v10, v13
	s_waitcnt lgkmcnt(2)
	v_cndmask_b32_e64 v19, v19, 0, s[8:9]
	v_add_u32_e32 v16, v19, v16
	ds_bpermute_b32 v19, v3, v16
	s_waitcnt lgkmcnt(2)
	v_cndmask_b32_e64 v21, v21, 0, s[12:13]
	s_waitcnt lgkmcnt(1)
	v_cndmask_b32_e64 v20, v20, 0, s[10:11]
	v_add_u32_e32 v13, v20, v13
	ds_bpermute_b32 v20, v11, v13
	v_add3_u32 v17, v21, v18, v17
	ds_bpermute_b32 v21, v4, v12
	s_waitcnt lgkmcnt(2)
	v_cndmask_b32_e64 v19, v19, 0, s[4:5]
	v_add_u32_e32 v16, v19, v16
	s_waitcnt lgkmcnt(1)
	v_cndmask_b32_e64 v20, v20, 0, s[8:9]
	ds_bpermute_b32 v19, v2, v16
	v_add_u32_e32 v13, v20, v13
	s_waitcnt lgkmcnt(1)
	v_cndmask_b32_e64 v21, v21, 0, vcc
	ds_bpermute_b32 v18, v5, v17
	ds_bpermute_b32 v20, v3, v13
	v_add_u32_e32 v12, v21, v12
	ds_bpermute_b32 v21, v9, v12
	s_waitcnt lgkmcnt(3)
	v_cndmask_b32_e64 v19, v19, 0, s[12:13]
	s_waitcnt lgkmcnt(2)
	v_add3_u32 v16, v19, v16, v18
	s_waitcnt lgkmcnt(1)
	v_cndmask_b32_e64 v18, v20, 0, s[4:5]
	v_add_u32_e32 v18, v18, v13
	s_waitcnt lgkmcnt(0)
	v_cndmask_b32_e64 v13, v21, 0, s[2:3]
	v_add_u32_e32 v20, v13, v12
	ds_read2st64_b32 v[12:13], v8 offset0:18 offset1:19
	ds_bpermute_b32 v21, v10, v20
	ds_bpermute_b32 v23, v4, v15
	;; [unrolled: 1-line block ×4, first 2 shown]
	ds_write2st64_b32 v8, v16, v17 offset0:24 offset1:25
	s_waitcnt lgkmcnt(4)
	v_cndmask_b32_e64 v21, v21, 0, s[10:11]
	v_add_u32_e32 v20, v21, v20
	s_waitcnt lgkmcnt(3)
	v_cndmask_b32_e64 v23, v23, 0, vcc
	ds_bpermute_b32 v21, v11, v20
	v_add_u32_e32 v15, v23, v15
	ds_bpermute_b32 v23, v9, v15
	s_waitcnt lgkmcnt(4)
	v_cndmask_b32_e64 v19, v19, 0, s[12:13]
	s_waitcnt lgkmcnt(3)
	v_add3_u32 v18, v19, v18, v22
	s_waitcnt lgkmcnt(1)
	v_cndmask_b32_e64 v19, v21, 0, s[8:9]
	v_add_u32_e32 v19, v19, v20
	s_waitcnt lgkmcnt(0)
	v_cndmask_b32_e64 v21, v23, 0, s[2:3]
	ds_bpermute_b32 v20, v3, v19
	v_add_u32_e32 v15, v21, v15
	ds_bpermute_b32 v21, v10, v15
	ds_bpermute_b32 v22, v5, v18
	;; [unrolled: 1-line block ×3, first 2 shown]
	s_waitcnt lgkmcnt(3)
	v_cndmask_b32_e64 v20, v20, 0, s[4:5]
	v_add_u32_e32 v19, v20, v19
	s_waitcnt lgkmcnt(2)
	v_cndmask_b32_e64 v21, v21, 0, s[10:11]
	ds_bpermute_b32 v20, v2, v19
	v_add_u32_e32 v15, v21, v15
	ds_bpermute_b32 v21, v11, v15
	s_waitcnt lgkmcnt(2)
	v_cndmask_b32_e64 v17, v17, 0, vcc
	v_add_u32_e32 v14, v17, v14
	s_waitcnt lgkmcnt(1)
	v_cndmask_b32_e64 v16, v20, 0, s[12:13]
	v_add3_u32 v16, v16, v19, v22
	s_waitcnt lgkmcnt(0)
	v_cndmask_b32_e64 v19, v21, 0, s[8:9]
	v_add_u32_e32 v15, v19, v15
	ds_bpermute_b32 v19, v3, v15
	ds_bpermute_b32 v17, v9, v14
	ds_write2st64_b32 v8, v16, v18 offset0:22 offset1:23
	ds_bpermute_b32 v16, v5, v16
	s_waitcnt lgkmcnt(3)
	v_cndmask_b32_e64 v18, v19, 0, s[4:5]
	v_add_u32_e32 v18, v18, v15
	ds_bpermute_b32 v15, v2, v18
	s_waitcnt lgkmcnt(3)
	v_cndmask_b32_e64 v17, v17, 0, s[2:3]
	v_add_u32_e32 v17, v17, v14
	ds_bpermute_b32 v19, v10, v17
	s_waitcnt lgkmcnt(1)
	v_cndmask_b32_e64 v20, v15, 0, s[12:13]
	ds_read2st64_b32 v[14:15], v8 offset0:16 offset1:17
	ds_bpermute_b32 v21, v4, v13
	s_waitcnt lgkmcnt(2)
	v_cndmask_b32_e64 v19, v19, 0, s[10:11]
	v_add_u32_e32 v17, v19, v17
	ds_bpermute_b32 v19, v11, v17
	v_add3_u32 v16, v20, v18, v16
	s_waitcnt lgkmcnt(1)
	v_cndmask_b32_e64 v18, v21, 0, vcc
	v_add_u32_e32 v13, v18, v13
	ds_bpermute_b32 v18, v9, v13
	s_waitcnt lgkmcnt(1)
	v_cndmask_b32_e64 v19, v19, 0, s[8:9]
	v_add_u32_e32 v17, v19, v17
	ds_bpermute_b32 v19, v3, v17
	ds_bpermute_b32 v20, v5, v16
	s_waitcnt lgkmcnt(2)
	v_cndmask_b32_e64 v18, v18, 0, s[2:3]
	v_add_u32_e32 v13, v18, v13
	ds_bpermute_b32 v18, v10, v13
	s_waitcnt lgkmcnt(2)
	v_cndmask_b32_e64 v19, v19, 0, s[4:5]
	v_add_u32_e32 v17, v19, v17
	ds_bpermute_b32 v19, v4, v12
	ds_bpermute_b32 v21, v2, v17
	s_waitcnt lgkmcnt(2)
	v_cndmask_b32_e64 v18, v18, 0, s[10:11]
	v_add_u32_e32 v13, v18, v13
	ds_bpermute_b32 v18, v11, v13
	s_waitcnt lgkmcnt(2)
	v_cndmask_b32_e64 v19, v19, 0, vcc
	v_add_u32_e32 v12, v19, v12
	ds_bpermute_b32 v19, v9, v12
	s_waitcnt lgkmcnt(2)
	v_cndmask_b32_e64 v21, v21, 0, s[12:13]
	s_waitcnt lgkmcnt(1)
	v_cndmask_b32_e64 v18, v18, 0, s[8:9]
	v_add_u32_e32 v13, v18, v13
	ds_bpermute_b32 v18, v3, v13
	s_waitcnt lgkmcnt(1)
	v_cndmask_b32_e64 v19, v19, 0, s[2:3]
	v_add_u32_e32 v12, v19, v12
	ds_bpermute_b32 v19, v10, v12
	v_add3_u32 v17, v21, v17, v20
	s_waitcnt lgkmcnt(1)
	v_cndmask_b32_e64 v18, v18, 0, s[4:5]
	v_add_u32_e32 v13, v18, v13
	ds_bpermute_b32 v18, v2, v13
	s_waitcnt lgkmcnt(1)
	v_cndmask_b32_e64 v19, v19, 0, s[10:11]
	v_add_u32_e32 v12, v19, v12
	ds_bpermute_b32 v19, v11, v12
	ds_write2st64_b32 v8, v17, v16 offset0:20 offset1:21
	ds_bpermute_b32 v16, v5, v17
	s_waitcnt lgkmcnt(3)
	v_cndmask_b32_e64 v17, v18, 0, s[12:13]
	ds_bpermute_b32 v18, v4, v15
	s_waitcnt lgkmcnt(3)
	v_cndmask_b32_e64 v19, v19, 0, s[8:9]
	v_add_u32_e32 v12, v19, v12
	ds_bpermute_b32 v19, v3, v12
	s_waitcnt lgkmcnt(2)
	v_add3_u32 v13, v17, v13, v16
	s_waitcnt lgkmcnt(1)
	v_cndmask_b32_e64 v16, v18, 0, vcc
	v_add_u32_e32 v15, v16, v15
	ds_bpermute_b32 v16, v9, v15
	s_waitcnt lgkmcnt(1)
	v_cndmask_b32_e64 v17, v19, 0, s[4:5]
	v_add_u32_e32 v12, v17, v12
	ds_bpermute_b32 v17, v2, v12
	ds_bpermute_b32 v18, v5, v13
	s_waitcnt lgkmcnt(2)
	v_cndmask_b32_e64 v16, v16, 0, s[2:3]
	v_add_u32_e32 v15, v16, v15
	ds_bpermute_b32 v16, v10, v15
	s_waitcnt lgkmcnt(2)
	v_cndmask_b32_e64 v17, v17, 0, s[12:13]
	s_waitcnt lgkmcnt(1)
	v_add3_u32 v12, v17, v12, v18
	ds_write2st64_b32 v8, v12, v13 offset0:18 offset1:19
	ds_bpermute_b32 v17, v4, v14
	s_waitcnt lgkmcnt(2)
	v_cndmask_b32_e64 v13, v16, 0, s[10:11]
	v_add_u32_e32 v13, v13, v15
	ds_bpermute_b32 v15, v11, v13
	s_waitcnt lgkmcnt(1)
	v_cndmask_b32_e64 v16, v17, 0, vcc
	v_add_u32_e32 v14, v16, v14
	ds_bpermute_b32 v17, v5, v12
	s_waitcnt lgkmcnt(1)
	v_cndmask_b32_e64 v12, v15, 0, s[8:9]
	ds_bpermute_b32 v16, v9, v14
	v_add_u32_e32 v18, v12, v13
	ds_bpermute_b32 v15, v3, v18
	ds_read2st64_b32 v[12:13], v8 offset0:14 offset1:15
	s_waitcnt lgkmcnt(2)
	v_cndmask_b32_e64 v16, v16, 0, s[2:3]
	v_add_u32_e32 v16, v16, v14
	s_waitcnt lgkmcnt(1)
	v_cndmask_b32_e64 v20, v15, 0, s[4:5]
	ds_read2st64_b32 v[14:15], v8 offset0:12 offset1:13
	s_waitcnt lgkmcnt(1)
	ds_bpermute_b32 v21, v4, v13
	v_add_u32_e32 v18, v20, v18
	ds_bpermute_b32 v19, v10, v16
	s_waitcnt lgkmcnt(1)
	v_cndmask_b32_e64 v20, v21, 0, vcc
	v_add_u32_e32 v13, v20, v13
	ds_bpermute_b32 v20, v9, v13
	s_waitcnt lgkmcnt(1)
	v_cndmask_b32_e64 v19, v19, 0, s[10:11]
	v_add_u32_e32 v16, v19, v16
	ds_bpermute_b32 v19, v11, v16
	ds_bpermute_b32 v21, v2, v18
	s_waitcnt lgkmcnt(2)
	v_cndmask_b32_e64 v20, v20, 0, s[2:3]
	v_add_u32_e32 v13, v20, v13
	ds_bpermute_b32 v20, v10, v13
	s_waitcnt lgkmcnt(2)
	v_cndmask_b32_e64 v19, v19, 0, s[8:9]
	v_add_u32_e32 v16, v19, v16
	ds_bpermute_b32 v19, v3, v16
	s_waitcnt lgkmcnt(2)
	v_cndmask_b32_e64 v21, v21, 0, s[12:13]
	s_waitcnt lgkmcnt(1)
	v_cndmask_b32_e64 v20, v20, 0, s[10:11]
	v_add_u32_e32 v13, v20, v13
	ds_bpermute_b32 v20, v11, v13
	v_add3_u32 v17, v21, v18, v17
	ds_bpermute_b32 v21, v4, v12
	s_waitcnt lgkmcnt(2)
	v_cndmask_b32_e64 v19, v19, 0, s[4:5]
	v_add_u32_e32 v16, v19, v16
	s_waitcnt lgkmcnt(1)
	v_cndmask_b32_e64 v20, v20, 0, s[8:9]
	ds_bpermute_b32 v19, v2, v16
	v_add_u32_e32 v13, v20, v13
	s_waitcnt lgkmcnt(1)
	v_cndmask_b32_e64 v21, v21, 0, vcc
	ds_bpermute_b32 v18, v5, v17
	ds_bpermute_b32 v20, v3, v13
	v_add_u32_e32 v12, v21, v12
	ds_bpermute_b32 v21, v9, v12
	s_waitcnt lgkmcnt(3)
	v_cndmask_b32_e64 v19, v19, 0, s[12:13]
	s_waitcnt lgkmcnt(2)
	v_add3_u32 v16, v19, v16, v18
	s_waitcnt lgkmcnt(1)
	v_cndmask_b32_e64 v18, v20, 0, s[4:5]
	v_add_u32_e32 v18, v18, v13
	s_waitcnt lgkmcnt(0)
	v_cndmask_b32_e64 v13, v21, 0, s[2:3]
	v_add_u32_e32 v20, v13, v12
	ds_read2st64_b32 v[12:13], v8 offset0:10 offset1:11
	ds_bpermute_b32 v21, v10, v20
	ds_bpermute_b32 v23, v4, v15
	ds_bpermute_b32 v19, v2, v18
	ds_bpermute_b32 v22, v5, v16
	ds_write2st64_b32 v8, v16, v17 offset0:16 offset1:17
	s_waitcnt lgkmcnt(4)
	v_cndmask_b32_e64 v21, v21, 0, s[10:11]
	v_add_u32_e32 v20, v21, v20
	s_waitcnt lgkmcnt(3)
	v_cndmask_b32_e64 v23, v23, 0, vcc
	ds_bpermute_b32 v21, v11, v20
	v_add_u32_e32 v15, v23, v15
	ds_bpermute_b32 v23, v9, v15
	s_waitcnt lgkmcnt(4)
	v_cndmask_b32_e64 v19, v19, 0, s[12:13]
	s_waitcnt lgkmcnt(3)
	v_add3_u32 v18, v19, v18, v22
	s_waitcnt lgkmcnt(1)
	v_cndmask_b32_e64 v19, v21, 0, s[8:9]
	v_add_u32_e32 v19, v19, v20
	s_waitcnt lgkmcnt(0)
	v_cndmask_b32_e64 v21, v23, 0, s[2:3]
	ds_bpermute_b32 v20, v3, v19
	v_add_u32_e32 v15, v21, v15
	ds_bpermute_b32 v21, v10, v15
	ds_bpermute_b32 v23, v4, v14
	;; [unrolled: 1-line block ×3, first 2 shown]
	s_waitcnt lgkmcnt(3)
	v_cndmask_b32_e64 v20, v20, 0, s[4:5]
	v_add_u32_e32 v19, v20, v19
	s_waitcnt lgkmcnt(2)
	v_cndmask_b32_e64 v20, v21, 0, s[10:11]
	s_waitcnt lgkmcnt(1)
	v_cndmask_b32_e64 v21, v23, 0, vcc
	v_add_u32_e32 v15, v20, v15
	v_add_u32_e32 v14, v21, v14
	ds_bpermute_b32 v20, v11, v15
	ds_bpermute_b32 v21, v9, v14
	;; [unrolled: 1-line block ×3, first 2 shown]
	s_waitcnt lgkmcnt(2)
	v_cndmask_b32_e64 v20, v20, 0, s[8:9]
	s_waitcnt lgkmcnt(1)
	v_cndmask_b32_e64 v21, v21, 0, s[2:3]
	v_add_u32_e32 v15, v20, v15
	v_add_u32_e32 v14, v21, v14
	ds_bpermute_b32 v20, v3, v15
	ds_bpermute_b32 v21, v10, v14
	s_waitcnt lgkmcnt(2)
	v_cndmask_b32_e64 v23, v23, 0, s[12:13]
	v_add3_u32 v19, v23, v19, v22
	ds_bpermute_b32 v22, v5, v19
	s_waitcnt lgkmcnt(2)
	v_cndmask_b32_e64 v20, v20, 0, s[4:5]
	s_waitcnt lgkmcnt(1)
	v_cndmask_b32_e64 v21, v21, 0, s[10:11]
	v_add_u32_e32 v21, v21, v14
	v_add_u32_e32 v20, v20, v15
	ds_read2st64_b32 v[14:15], v8 offset0:8 offset1:9
	ds_bpermute_b32 v24, v4, v13
	ds_bpermute_b32 v23, v11, v21
	;; [unrolled: 1-line block ×3, first 2 shown]
	ds_write2st64_b32 v8, v19, v18 offset0:14 offset1:15
	s_waitcnt lgkmcnt(4)
	ds_bpermute_b32 v17, v4, v15
	s_waitcnt lgkmcnt(4)
	v_cndmask_b32_e64 v24, v24, 0, vcc
	v_add_u32_e32 v13, v24, v13
	ds_bpermute_b32 v24, v9, v13
	s_waitcnt lgkmcnt(4)
	v_cndmask_b32_e64 v23, v23, 0, s[8:9]
	v_add_u32_e32 v21, v23, v21
	ds_bpermute_b32 v23, v3, v21
	s_waitcnt lgkmcnt(4)
	v_cndmask_b32_e64 v25, v25, 0, s[12:13]
	s_waitcnt lgkmcnt(1)
	v_cndmask_b32_e64 v24, v24, 0, s[2:3]
	v_add_u32_e32 v13, v24, v13
	ds_bpermute_b32 v24, v10, v13
	v_add3_u32 v20, v25, v20, v22
	ds_bpermute_b32 v25, v4, v12
	s_waitcnt lgkmcnt(2)
	v_cndmask_b32_e64 v23, v23, 0, s[4:5]
	v_add_u32_e32 v21, v23, v21
	s_waitcnt lgkmcnt(1)
	v_cndmask_b32_e64 v24, v24, 0, s[10:11]
	ds_bpermute_b32 v23, v2, v21
	v_add_u32_e32 v13, v24, v13
	s_waitcnt lgkmcnt(1)
	v_cndmask_b32_e64 v25, v25, 0, vcc
	ds_bpermute_b32 v22, v5, v20
	ds_bpermute_b32 v24, v11, v13
	v_add_u32_e32 v12, v25, v12
	ds_bpermute_b32 v25, v9, v12
	s_waitcnt lgkmcnt(3)
	v_cndmask_b32_e64 v23, v23, 0, s[12:13]
	s_waitcnt lgkmcnt(2)
	v_add3_u32 v21, v23, v21, v22
	s_waitcnt lgkmcnt(1)
	v_cndmask_b32_e64 v22, v24, 0, s[8:9]
	v_add_u32_e32 v13, v22, v13
	s_waitcnt lgkmcnt(0)
	v_cndmask_b32_e64 v23, v25, 0, s[2:3]
	ds_bpermute_b32 v22, v3, v13
	v_add_u32_e32 v12, v23, v12
	ds_bpermute_b32 v23, v10, v12
	ds_bpermute_b32 v24, v5, v21
	v_cndmask_b32_e64 v17, v17, 0, vcc
	s_waitcnt lgkmcnt(2)
	v_cndmask_b32_e64 v22, v22, 0, s[4:5]
	v_add_u32_e32 v13, v22, v13
	s_waitcnt lgkmcnt(1)
	v_cndmask_b32_e64 v23, v23, 0, s[10:11]
	ds_bpermute_b32 v22, v2, v13
	v_add_u32_e32 v12, v23, v12
	ds_bpermute_b32 v23, v11, v12
	v_add_u32_e32 v15, v17, v15
	ds_bpermute_b32 v17, v9, v15
	s_waitcnt lgkmcnt(2)
	v_cndmask_b32_e64 v16, v22, 0, s[12:13]
	v_add3_u32 v16, v16, v13, v24
	s_waitcnt lgkmcnt(1)
	v_cndmask_b32_e64 v13, v23, 0, s[8:9]
	v_add_u32_e32 v12, v13, v12
	ds_bpermute_b32 v13, v3, v12
	s_waitcnt lgkmcnt(1)
	v_cndmask_b32_e64 v17, v17, 0, s[2:3]
	v_add_u32_e32 v15, v17, v15
	ds_bpermute_b32 v22, v5, v16
	ds_bpermute_b32 v17, v10, v15
	s_waitcnt lgkmcnt(2)
	v_cndmask_b32_e64 v13, v13, 0, s[4:5]
	v_add_u32_e32 v12, v13, v12
	ds_bpermute_b32 v13, v2, v12
	ds_bpermute_b32 v18, v4, v14
	ds_write2st64_b32 v8, v21, v20 offset0:12 offset1:13
	s_waitcnt lgkmcnt(2)
	v_cndmask_b32_e64 v13, v13, 0, s[12:13]
	v_add3_u32 v19, v13, v12, v22
	v_cndmask_b32_e64 v12, v17, 0, s[10:11]
	v_add_u32_e32 v12, v12, v15
	ds_bpermute_b32 v13, v11, v12
	s_waitcnt lgkmcnt(2)
	v_cndmask_b32_e64 v15, v18, 0, vcc
	v_add_u32_e32 v14, v15, v14
	ds_bpermute_b32 v15, v9, v14
	ds_bpermute_b32 v17, v5, v19
	s_waitcnt lgkmcnt(2)
	v_cndmask_b32_e64 v13, v13, 0, s[8:9]
	v_add_u32_e32 v18, v13, v12
	ds_read2st64_b32 v[12:13], v8 offset0:6 offset1:7
	s_waitcnt lgkmcnt(2)
	v_cndmask_b32_e64 v15, v15, 0, s[2:3]
	ds_bpermute_b32 v22, v3, v18
	v_add_u32_e32 v23, v15, v14
	ds_read2st64_b32 v[14:15], v8 offset0:4 offset1:5
	ds_bpermute_b32 v24, v10, v23
	s_waitcnt lgkmcnt(3)
	ds_bpermute_b32 v25, v4, v13
	s_waitcnt lgkmcnt(3)
	v_cndmask_b32_e64 v22, v22, 0, s[4:5]
	v_add_u32_e32 v18, v22, v18
	s_waitcnt lgkmcnt(1)
	v_cndmask_b32_e64 v22, v24, 0, s[10:11]
	s_waitcnt lgkmcnt(0)
	v_cndmask_b32_e64 v24, v25, 0, vcc
	v_add_u32_e32 v13, v24, v13
	ds_bpermute_b32 v24, v9, v13
	v_add_u32_e32 v22, v22, v23
	ds_bpermute_b32 v23, v11, v22
	ds_bpermute_b32 v25, v2, v18
	s_waitcnt lgkmcnt(2)
	v_cndmask_b32_e64 v24, v24, 0, s[2:3]
	v_add_u32_e32 v13, v24, v13
	ds_bpermute_b32 v24, v10, v13
	s_waitcnt lgkmcnt(2)
	v_cndmask_b32_e64 v23, v23, 0, s[8:9]
	v_add_u32_e32 v22, v23, v22
	ds_bpermute_b32 v23, v3, v22
	s_waitcnt lgkmcnt(2)
	v_cndmask_b32_e64 v25, v25, 0, s[12:13]
	s_waitcnt lgkmcnt(1)
	v_cndmask_b32_e64 v24, v24, 0, s[10:11]
	v_add_u32_e32 v13, v24, v13
	ds_bpermute_b32 v24, v11, v13
	v_add3_u32 v17, v25, v18, v17
	ds_bpermute_b32 v25, v4, v12
	s_waitcnt lgkmcnt(2)
	v_cndmask_b32_e64 v23, v23, 0, s[4:5]
	v_add_u32_e32 v22, v23, v22
	s_waitcnt lgkmcnt(1)
	v_cndmask_b32_e64 v24, v24, 0, s[8:9]
	ds_bpermute_b32 v23, v2, v22
	v_add_u32_e32 v13, v24, v13
	s_waitcnt lgkmcnt(1)
	v_cndmask_b32_e64 v25, v25, 0, vcc
	ds_bpermute_b32 v18, v5, v17
	ds_bpermute_b32 v24, v3, v13
	v_add_u32_e32 v12, v25, v12
	ds_bpermute_b32 v25, v9, v12
	s_waitcnt lgkmcnt(3)
	v_cndmask_b32_e64 v23, v23, 0, s[12:13]
	s_waitcnt lgkmcnt(2)
	v_add3_u32 v18, v23, v22, v18
	s_waitcnt lgkmcnt(1)
	v_cndmask_b32_e64 v22, v24, 0, s[4:5]
	v_add_u32_e32 v22, v22, v13
	s_waitcnt lgkmcnt(0)
	v_cndmask_b32_e64 v13, v25, 0, s[2:3]
	v_add_u32_e32 v24, v13, v12
	ds_read2st64_b32 v[12:13], v8 offset0:2 offset1:3
	ds_bpermute_b32 v25, v10, v24
	ds_bpermute_b32 v27, v4, v15
	;; [unrolled: 1-line block ×4, first 2 shown]
	s_waitcnt lgkmcnt(3)
	v_cndmask_b32_e64 v25, v25, 0, s[10:11]
	v_add_u32_e32 v24, v25, v24
	s_waitcnt lgkmcnt(2)
	v_cndmask_b32_e64 v27, v27, 0, vcc
	ds_bpermute_b32 v25, v11, v24
	v_add_u32_e32 v15, v27, v15
	ds_bpermute_b32 v27, v9, v15
	s_waitcnt lgkmcnt(3)
	v_cndmask_b32_e64 v23, v23, 0, s[12:13]
	s_waitcnt lgkmcnt(2)
	v_add3_u32 v22, v23, v22, v26
	s_waitcnt lgkmcnt(1)
	v_cndmask_b32_e64 v23, v25, 0, s[8:9]
	v_add_u32_e32 v23, v23, v24
	s_waitcnt lgkmcnt(0)
	v_cndmask_b32_e64 v25, v27, 0, s[2:3]
	ds_bpermute_b32 v24, v3, v23
	v_add_u32_e32 v15, v25, v15
	ds_bpermute_b32 v25, v10, v15
	ds_bpermute_b32 v27, v4, v14
	;; [unrolled: 1-line block ×3, first 2 shown]
	s_waitcnt lgkmcnt(3)
	v_cndmask_b32_e64 v24, v24, 0, s[4:5]
	v_add_u32_e32 v23, v24, v23
	s_waitcnt lgkmcnt(2)
	v_cndmask_b32_e64 v24, v25, 0, s[10:11]
	s_waitcnt lgkmcnt(1)
	v_cndmask_b32_e64 v25, v27, 0, vcc
	v_add_u32_e32 v15, v24, v15
	v_add_u32_e32 v14, v25, v14
	ds_bpermute_b32 v24, v11, v15
	ds_bpermute_b32 v25, v9, v14
	;; [unrolled: 1-line block ×3, first 2 shown]
	s_waitcnt lgkmcnt(2)
	v_cndmask_b32_e64 v24, v24, 0, s[8:9]
	s_waitcnt lgkmcnt(1)
	v_cndmask_b32_e64 v25, v25, 0, s[2:3]
	v_add_u32_e32 v15, v24, v15
	v_add_u32_e32 v14, v25, v14
	ds_bpermute_b32 v24, v3, v15
	ds_bpermute_b32 v25, v10, v14
	s_waitcnt lgkmcnt(2)
	v_cndmask_b32_e64 v27, v27, 0, s[12:13]
	v_add3_u32 v23, v27, v23, v26
	ds_bpermute_b32 v26, v5, v23
	s_waitcnt lgkmcnt(2)
	v_cndmask_b32_e64 v24, v24, 0, s[4:5]
	s_waitcnt lgkmcnt(1)
	v_cndmask_b32_e64 v25, v25, 0, s[10:11]
	v_add_u32_e32 v25, v25, v14
	v_add_u32_e32 v24, v24, v15
	ds_read2st64_b32 v[14:15], v8 offset1:1
	ds_bpermute_b32 v28, v4, v13
	ds_bpermute_b32 v27, v11, v25
	;; [unrolled: 1-line block ×3, first 2 shown]
	ds_write2st64_b32 v8, v19, v16 offset0:10 offset1:11
	ds_write2st64_b32 v8, v18, v17 offset0:8 offset1:9
	s_waitcnt lgkmcnt(4)
	v_cndmask_b32_e64 v28, v28, 0, vcc
	v_add_u32_e32 v13, v28, v13
	ds_bpermute_b32 v28, v9, v13
	s_waitcnt lgkmcnt(4)
	v_cndmask_b32_e64 v27, v27, 0, s[8:9]
	v_add_u32_e32 v25, v27, v25
	ds_bpermute_b32 v27, v3, v25
	s_waitcnt lgkmcnt(4)
	v_cndmask_b32_e64 v29, v29, 0, s[12:13]
	s_waitcnt lgkmcnt(1)
	v_cndmask_b32_e64 v28, v28, 0, s[2:3]
	v_add_u32_e32 v13, v28, v13
	ds_bpermute_b32 v28, v10, v13
	s_waitcnt lgkmcnt(1)
	v_cndmask_b32_e64 v27, v27, 0, s[4:5]
	v_add_u32_e32 v25, v27, v25
	ds_bpermute_b32 v27, v2, v25
	v_add3_u32 v24, v29, v24, v26
	s_waitcnt lgkmcnt(1)
	v_cndmask_b32_e64 v28, v28, 0, s[10:11]
	v_add_u32_e32 v13, v28, v13
	ds_bpermute_b32 v26, v5, v24
	ds_bpermute_b32 v28, v11, v13
	s_waitcnt lgkmcnt(2)
	v_cndmask_b32_e64 v27, v27, 0, s[12:13]
	ds_bpermute_b32 v29, v4, v12
	s_waitcnt lgkmcnt(2)
	v_add3_u32 v25, v27, v25, v26
	s_waitcnt lgkmcnt(1)
	v_cndmask_b32_e64 v26, v28, 0, s[8:9]
	v_add_u32_e32 v13, v26, v13
	ds_bpermute_b32 v26, v3, v13
	s_waitcnt lgkmcnt(1)
	v_cndmask_b32_e64 v29, v29, 0, vcc
	v_add_u32_e32 v12, v29, v12
	ds_bpermute_b32 v29, v9, v12
	ds_bpermute_b32 v28, v5, v25
	s_waitcnt lgkmcnt(2)
	v_cndmask_b32_e64 v26, v26, 0, s[4:5]
	v_add_u32_e32 v13, v26, v13
	ds_bpermute_b32 v26, v2, v13
	s_waitcnt lgkmcnt(2)
	v_cndmask_b32_e64 v27, v29, 0, s[2:3]
	v_add_u32_e32 v12, v27, v12
	ds_bpermute_b32 v27, v10, v12
	s_waitcnt lgkmcnt(1)
	v_cndmask_b32_e64 v20, v26, 0, s[12:13]
	v_add3_u32 v13, v20, v13, v28
	ds_bpermute_b32 v20, v4, v15
	s_waitcnt lgkmcnt(1)
	v_cndmask_b32_e64 v27, v27, 0, s[10:11]
	v_add_u32_e32 v12, v27, v12
	ds_bpermute_b32 v27, v11, v12
	ds_bpermute_b32 v4, v4, v14
	s_waitcnt lgkmcnt(2)
	v_cndmask_b32_e64 v20, v20, 0, vcc
	v_add_u32_e32 v15, v20, v15
	ds_bpermute_b32 v20, v9, v15
	s_waitcnt lgkmcnt(2)
	v_cndmask_b32_e64 v21, v27, 0, s[8:9]
	s_waitcnt lgkmcnt(1)
	v_cndmask_b32_e64 v4, v4, 0, vcc
	v_add_u32_e32 v12, v21, v12
	v_add_u32_e32 v4, v4, v14
	s_waitcnt lgkmcnt(0)
	v_cndmask_b32_e64 v20, v20, 0, s[2:3]
	ds_bpermute_b32 v21, v3, v12
	v_add_u32_e32 v15, v20, v15
	ds_bpermute_b32 v9, v9, v4
	ds_bpermute_b32 v20, v10, v15
	;; [unrolled: 1-line block ×3, first 2 shown]
	s_waitcnt lgkmcnt(3)
	v_cndmask_b32_e64 v21, v21, 0, s[4:5]
	v_add_u32_e32 v12, v21, v12
	s_waitcnt lgkmcnt(2)
	v_cndmask_b32_e64 v9, v9, 0, s[2:3]
	s_waitcnt lgkmcnt(1)
	v_cndmask_b32_e64 v20, v20, 0, s[10:11]
	v_add_u32_e32 v4, v9, v4
	ds_bpermute_b32 v21, v2, v12
	v_add_u32_e32 v15, v20, v15
	ds_bpermute_b32 v9, v10, v4
	ds_bpermute_b32 v20, v11, v15
	s_waitcnt lgkmcnt(2)
	v_cndmask_b32_e64 v14, v21, 0, s[12:13]
	v_add3_u32 v10, v14, v12, v26
	s_waitcnt lgkmcnt(1)
	v_cndmask_b32_e64 v9, v9, 0, s[10:11]
	s_waitcnt lgkmcnt(0)
	v_cndmask_b32_e64 v12, v20, 0, s[8:9]
	v_add_u32_e32 v4, v9, v4
	v_add_u32_e32 v12, v12, v15
	ds_bpermute_b32 v9, v11, v4
	ds_bpermute_b32 v14, v3, v12
	;; [unrolled: 1-line block ×3, first 2 shown]
	ds_write2st64_b32 v8, v23, v22 offset0:6 offset1:7
	ds_write2st64_b32 v8, v25, v24 offset0:4 offset1:5
	;; [unrolled: 1-line block ×3, first 2 shown]
	s_waitcnt lgkmcnt(5)
	v_cndmask_b32_e64 v9, v9, 0, s[8:9]
	s_waitcnt lgkmcnt(4)
	v_cndmask_b32_e64 v14, v14, 0, s[4:5]
	v_add_u32_e32 v4, v9, v4
	v_add_u32_e32 v12, v14, v12
	ds_bpermute_b32 v3, v3, v4
	ds_bpermute_b32 v14, v2, v12
	s_waitcnt lgkmcnt(1)
	v_cndmask_b32_e64 v3, v3, 0, s[4:5]
	s_waitcnt lgkmcnt(0)
	v_cndmask_b32_e64 v9, v14, 0, s[12:13]
	v_add_u32_e32 v3, v3, v4
	v_add3_u32 v9, v9, v12, v11
	ds_bpermute_b32 v2, v2, v3
	ds_bpermute_b32 v4, v5, v9
	s_waitcnt lgkmcnt(1)
	v_cndmask_b32_e64 v2, v2, 0, s[12:13]
	s_waitcnt lgkmcnt(0)
	v_add3_u32 v2, v2, v3, v4
	ds_write2st64_b32 v8, v2, v9 offset1:1
.LBB0_8:
	s_or_b64 exec, exec, s[28:29]
	s_lshl_b64 s[2:3], s[20:21], 2
	s_add_u32 s4, s26, s2
	s_addc_u32 s5, s27, s3
	s_lshl_b64 s[2:3], s[6:7], 2
	s_add_u32 s2, s4, s2
	s_addc_u32 s3, s5, s3
	v_cmp_eq_u32_e32 vcc, 0, v0
	s_and_saveexec_b64 s[4:5], vcc
	s_cbranch_execz .LBB0_10
; %bb.9:
	v_mov_b32_e32 v2, 0
	global_store_dword v2, v2, s[2:3]
.LBB0_10:
	s_or_b64 exec, exec, s[4:5]
	s_waitcnt lgkmcnt(0)
	s_barrier
	s_and_saveexec_b64 s[4:5], s[0:1]
	s_cbranch_execz .LBB0_17
; %bb.11:
	s_ashr_i32 s0, s19, 31
	s_mul_hi_u32 s1, s30, s19
	s_mul_i32 s0, s30, s0
	s_add_i32 s0, s1, s0
	s_mul_i32 s31, s31, s19
	s_add_i32 s1, s0, s31
	s_mul_i32 s0, s30, s19
	s_lshl_b64 s[0:1], s[0:1], 2
	s_add_u32 s8, s24, s0
	s_addc_u32 s9, s25, s1
	s_add_i32 s0, s34, s33
	s_add_i32 s15, s0, s35
	s_lshl_b64 s[0:1], s[14:15], 2
	s_add_u32 s0, s16, s0
	s_addc_u32 s1, s17, s1
	v_mov_b32_e32 v3, s1
	v_add_co_u32_e32 v2, vcc, s0, v7
	v_mov_b32_e32 v8, 0
	v_addc_co_u32_e32 v3, vcc, 0, v3, vcc
	s_mov_b64 s[4:5], 0
	v_mov_b32_e32 v7, 1
	v_mov_b32_e32 v9, 0x7ff
	s_branch .LBB0_13
.LBB0_12:                               ;   in Loop: Header=BB0_13 Depth=1
	s_or_b64 exec, exec, s[0:1]
	v_add_co_u32_e32 v0, vcc, 0x100, v0
	v_addc_co_u32_e32 v1, vcc, 0, v1, vcc
	v_add_co_u32_e32 v2, vcc, 0x400, v2
	v_cmp_le_u64_e64 s[0:1], s[22:23], v[0:1]
	s_or_b64 s[4:5], s[0:1], s[4:5]
	v_addc_co_u32_e32 v3, vcc, 0, v3, vcc
	s_andn2_b64 exec, exec, s[4:5]
	s_cbranch_execz .LBB0_17
.LBB0_13:                               ; =>This Inner Loop Header: Depth=1
	global_load_dword v4, v[2:3], off
	s_waitcnt vmcnt(0)
	v_cmp_lt_f32_e32 vcc, s18, v4
	s_and_saveexec_b64 s[0:1], vcc
	s_cbranch_execz .LBB0_12
; %bb.14:                               ;   in Loop: Header=BB0_13 Depth=1
	v_subrev_f32_e32 v4, s18, v4
	v_div_scale_f32 v5, s[6:7], v6, v6, v4
	v_rcp_f32_e32 v10, v5
	v_div_scale_f32 v11, vcc, v4, v6, v4
	v_fma_f32 v12, -v5, v10, 1.0
	v_fmac_f32_e32 v10, v12, v10
	v_mul_f32_e32 v12, v11, v10
	v_fma_f32 v13, -v5, v12, v11
	v_fmac_f32_e32 v12, v13, v10
	v_fma_f32 v5, -v5, v12, v11
	v_div_fmas_f32 v5, v5, v10, v12
	v_div_fixup_f32 v4, v5, v6, v4
	v_mul_f32_e32 v4, 0x45000000, v4
	v_cvt_i32_f32_e32 v4, v4
	v_med3_i32 v4, v4, 0, v9
	v_lshlrev_b32_e32 v4, 2, v4
	ds_add_rtn_u32 v4, v4, v7
	s_waitcnt lgkmcnt(0)
	v_cmp_gt_i32_e32 vcc, s19, v4
	s_and_b64 exec, exec, vcc
	s_cbranch_execz .LBB0_12
; %bb.15:                               ;   in Loop: Header=BB0_13 Depth=1
	v_ashrrev_i32_e32 v5, 31, v4
	v_lshlrev_b64 v[4:5], 2, v[4:5]
	v_mov_b32_e32 v10, s9
	v_add_co_u32_e32 v4, vcc, s8, v4
	s_mov_b64 s[6:7], exec
	v_addc_co_u32_e32 v5, vcc, v10, v5, vcc
	global_store_dword v[4:5], v0, off
	v_mbcnt_lo_u32_b32 v4, s6, 0
	v_mbcnt_hi_u32_b32 v4, s7, v4
	v_cmp_eq_u32_e32 vcc, 0, v4
	s_and_b64 s[10:11], exec, vcc
	s_mov_b64 exec, s[10:11]
	s_cbranch_execz .LBB0_12
; %bb.16:                               ;   in Loop: Header=BB0_13 Depth=1
	s_bcnt1_i32_b64 s6, s[6:7]
	v_mov_b32_e32 v4, s6
	global_atomic_add v8, v4, s[2:3]
	s_branch .LBB0_12
.LBB0_17:
	s_endpgm
	.section	.rodata,"a",@progbits
	.p2align	6, 0x0
	.amdhsa_kernel _Z8findTopKIfLi2048ELi256ELi64EEvPiS0_PKT_fimm
		.amdhsa_group_segment_fixed_size 8192
		.amdhsa_private_segment_fixed_size 0
		.amdhsa_kernarg_size 48
		.amdhsa_user_sgpr_count 6
		.amdhsa_user_sgpr_private_segment_buffer 1
		.amdhsa_user_sgpr_dispatch_ptr 0
		.amdhsa_user_sgpr_queue_ptr 0
		.amdhsa_user_sgpr_kernarg_segment_ptr 1
		.amdhsa_user_sgpr_dispatch_id 0
		.amdhsa_user_sgpr_flat_scratch_init 0
		.amdhsa_user_sgpr_kernarg_preload_length 0
		.amdhsa_user_sgpr_kernarg_preload_offset 0
		.amdhsa_user_sgpr_private_segment_size 0
		.amdhsa_uses_dynamic_stack 0
		.amdhsa_system_sgpr_private_segment_wavefront_offset 0
		.amdhsa_system_sgpr_workgroup_id_x 1
		.amdhsa_system_sgpr_workgroup_id_y 1
		.amdhsa_system_sgpr_workgroup_id_z 0
		.amdhsa_system_sgpr_workgroup_info 0
		.amdhsa_system_vgpr_workitem_id 0
		.amdhsa_next_free_vgpr 30
		.amdhsa_next_free_sgpr 36
		.amdhsa_accum_offset 32
		.amdhsa_reserve_vcc 1
		.amdhsa_reserve_flat_scratch 0
		.amdhsa_float_round_mode_32 0
		.amdhsa_float_round_mode_16_64 0
		.amdhsa_float_denorm_mode_32 3
		.amdhsa_float_denorm_mode_16_64 3
		.amdhsa_dx10_clamp 1
		.amdhsa_ieee_mode 1
		.amdhsa_fp16_overflow 0
		.amdhsa_tg_split 0
		.amdhsa_exception_fp_ieee_invalid_op 0
		.amdhsa_exception_fp_denorm_src 0
		.amdhsa_exception_fp_ieee_div_zero 0
		.amdhsa_exception_fp_ieee_overflow 0
		.amdhsa_exception_fp_ieee_underflow 0
		.amdhsa_exception_fp_ieee_inexact 0
		.amdhsa_exception_int_div_zero 0
	.end_amdhsa_kernel
	.section	.text._Z8findTopKIfLi2048ELi256ELi64EEvPiS0_PKT_fimm,"axG",@progbits,_Z8findTopKIfLi2048ELi256ELi64EEvPiS0_PKT_fimm,comdat
.Lfunc_end0:
	.size	_Z8findTopKIfLi2048ELi256ELi64EEvPiS0_PKT_fimm, .Lfunc_end0-_Z8findTopKIfLi2048ELi256ELi64EEvPiS0_PKT_fimm
                                        ; -- End function
	.section	.AMDGPU.csdata,"",@progbits
; Kernel info:
; codeLenInByte = 6384
; NumSgprs: 40
; NumVgprs: 30
; NumAgprs: 0
; TotalNumVgprs: 30
; ScratchSize: 0
; MemoryBound: 0
; FloatMode: 240
; IeeeMode: 1
; LDSByteSize: 8192 bytes/workgroup (compile time only)
; SGPRBlocks: 4
; VGPRBlocks: 3
; NumSGPRsForWavesPerEU: 40
; NumVGPRsForWavesPerEU: 30
; AccumOffset: 32
; Occupancy: 8
; WaveLimiterHint : 0
; COMPUTE_PGM_RSRC2:SCRATCH_EN: 0
; COMPUTE_PGM_RSRC2:USER_SGPR: 6
; COMPUTE_PGM_RSRC2:TRAP_HANDLER: 0
; COMPUTE_PGM_RSRC2:TGID_X_EN: 1
; COMPUTE_PGM_RSRC2:TGID_Y_EN: 1
; COMPUTE_PGM_RSRC2:TGID_Z_EN: 0
; COMPUTE_PGM_RSRC2:TIDIG_COMP_CNT: 0
; COMPUTE_PGM_RSRC3_GFX90A:ACCUM_OFFSET: 7
; COMPUTE_PGM_RSRC3_GFX90A:TG_SPLIT: 0
	.section	.text._Z8findTopKIfLi2048ELi256ELi32EEvPiS0_PKT_fimm,"axG",@progbits,_Z8findTopKIfLi2048ELi256ELi32EEvPiS0_PKT_fimm,comdat
	.protected	_Z8findTopKIfLi2048ELi256ELi32EEvPiS0_PKT_fimm ; -- Begin function _Z8findTopKIfLi2048ELi256ELi32EEvPiS0_PKT_fimm
	.globl	_Z8findTopKIfLi2048ELi256ELi32EEvPiS0_PKT_fimm
	.p2align	8
	.type	_Z8findTopKIfLi2048ELi256ELi32EEvPiS0_PKT_fimm,@function
_Z8findTopKIfLi2048ELi256ELi32EEvPiS0_PKT_fimm: ; @_Z8findTopKIfLi2048ELi256ELi32EEvPiS0_PKT_fimm
; %bb.0:
	s_load_dwordx8 s[12:19], s[4:5], 0x10
	s_load_dwordx4 s[20:23], s[4:5], 0x0
	v_mov_b32_e32 v1, 0
	v_lshlrev_b32_e32 v2, 2, v0
	v_lshlrev_b32_e32 v7, 2, v0
	s_waitcnt lgkmcnt(0)
	s_mul_i32 s0, s7, s17
	s_mul_hi_u32 s1, s7, s16
	s_add_i32 s25, s1, s0
	s_mul_i32 s24, s7, s16
	s_add_u32 s28, s24, s6
	s_addc_u32 s29, s25, 0
	s_mov_b32 s7, 0
	v_cmp_gt_u64_e64 s[0:1], s[18:19], v[0:1]
	v_sub_f32_e64 v6, 1.0, s14
	s_mul_i32 s30, s18, s29
	s_mul_hi_u32 s31, s18, s28
	s_mul_i32 s33, s19, s28
	s_mul_i32 s16, s18, s28
	ds_write2st64_b32 v2, v1, v1 offset1:4
	ds_write2st64_b32 v2, v1, v1 offset0:8 offset1:12
	ds_write2st64_b32 v2, v1, v1 offset0:16 offset1:20
	;; [unrolled: 1-line block ×3, first 2 shown]
	s_waitcnt lgkmcnt(0)
	s_barrier
	s_and_saveexec_b64 s[4:5], s[0:1]
	s_cbranch_execz .LBB1_6
; %bb.1:
	s_add_i32 s2, s31, s30
	s_add_i32 s17, s2, s33
	s_lshl_b64 s[2:3], s[16:17], 2
	s_add_u32 s2, s12, s2
	s_addc_u32 s3, s13, s3
	v_mov_b32_e32 v3, s3
	v_add_co_u32_e32 v2, vcc, s2, v7
	v_addc_co_u32_e32 v3, vcc, 0, v3, vcc
	s_mov_b64 s[8:9], 0
	v_mov_b32_e32 v8, 1
	v_pk_mov_b32 v[4:5], v[0:1], v[0:1] op_sel:[0,1]
	s_branch .LBB1_3
.LBB1_2:                                ;   in Loop: Header=BB1_3 Depth=1
	s_or_b64 exec, exec, s[2:3]
	v_add_co_u32_e32 v4, vcc, 0x100, v4
	v_addc_co_u32_e32 v5, vcc, 0, v5, vcc
	v_add_co_u32_e32 v2, vcc, 0x400, v2
	v_cmp_le_u64_e64 s[2:3], s[18:19], v[4:5]
	s_or_b64 s[8:9], s[2:3], s[8:9]
	v_addc_co_u32_e32 v3, vcc, 0, v3, vcc
	s_andn2_b64 exec, exec, s[8:9]
	s_cbranch_execz .LBB1_6
.LBB1_3:                                ; =>This Inner Loop Header: Depth=1
	global_load_dword v9, v[2:3], off
	s_waitcnt vmcnt(0)
	v_cmp_lt_f32_e32 vcc, s14, v9
	s_and_saveexec_b64 s[2:3], vcc
	s_cbranch_execz .LBB1_2
; %bb.4:                                ;   in Loop: Header=BB1_3 Depth=1
	v_subrev_f32_e32 v9, s14, v9
	v_div_scale_f32 v10, s[10:11], v6, v6, v9
	v_rcp_f32_e32 v11, v10
	v_div_scale_f32 v12, vcc, v9, v6, v9
	v_fma_f32 v13, -v10, v11, 1.0
	v_fmac_f32_e32 v11, v13, v11
	v_mul_f32_e32 v13, v12, v11
	v_fma_f32 v14, -v10, v13, v12
	v_fmac_f32_e32 v13, v14, v11
	v_fma_f32 v10, -v10, v13, v12
	v_div_fmas_f32 v10, v10, v11, v13
	v_div_fixup_f32 v9, v10, v6, v9
	v_mul_f32_e32 v9, 0x45000000, v9
	v_cvt_i32_f32_e32 v9, v9
	v_cmp_lt_i32_e32 vcc, 0, v9
	s_and_b64 exec, exec, vcc
	s_cbranch_execz .LBB1_2
; %bb.5:                                ;   in Loop: Header=BB1_3 Depth=1
	v_min_u32_e32 v9, 0x7ff, v9
	v_lshl_add_u32 v9, v9, 2, -4
	ds_add_u32 v9, v8
	s_branch .LBB1_2
.LBB1_6:
	s_or_b64 exec, exec, s[4:5]
	v_cmp_gt_u32_e32 vcc, 32, v0
	s_waitcnt lgkmcnt(0)
	s_barrier
	s_and_saveexec_b64 s[26:27], vcc
	s_cbranch_execz .LBB1_9
; %bb.7:
	v_mbcnt_lo_u32_b32 v2, -1, 0
	v_mbcnt_hi_u32_b32 v10, -1, v2
	v_and_b32_e32 v11, 63, v10
	v_cmp_gt_u32_e64 s[2:3], 62, v11
	v_cmp_gt_u32_e64 s[4:5], 60, v11
	;; [unrolled: 1-line block ×4, first 2 shown]
	v_cmp_ne_u32_e32 vcc, 63, v11
	v_cndmask_b32_e64 v4, 0, 1, s[2:3]
	v_cndmask_b32_e64 v8, 0, 1, s[4:5]
	;; [unrolled: 1-line block ×4, first 2 shown]
	v_lshlrev_b32_e32 v2, 2, v10
	v_addc_co_u32_e32 v3, vcc, 0, v10, vcc
	v_lshlrev_b32_e32 v4, 1, v4
	v_lshlrev_b32_e32 v8, 2, v8
	;; [unrolled: 1-line block ×4, first 2 shown]
	v_mov_b32_e32 v5, 0
	v_and_b32_e32 v2, 0x100, v2
	v_lshlrev_b32_e32 v3, 2, v3
	v_cmp_eq_u32_e32 vcc, 31, v0
	v_add_lshl_u32 v4, v4, v10, 2
	v_cmp_lt_u32_e64 s[2:3], 29, v0
	v_add_lshl_u32 v8, v8, v10, 2
	v_cmp_lt_u32_e64 s[4:5], 27, v0
	;; [unrolled: 2-line block ×4, first 2 shown]
	s_movk_i32 s17, 0x1e00
.LBB1_8:                                ; =>This Inner Loop Header: Depth=1
	v_add_u32_e32 v11, s17, v7
	ds_read2_b32 v[12:13], v11 offset0:64 offset1:96
	ds_read2_b32 v[14:15], v11 offset1:32
	s_addk_i32 s17, 0xfe00
	s_cmpk_lg_i32 s17, 0xfe00
	s_waitcnt lgkmcnt(1)
	ds_bpermute_b32 v16, v3, v13
	ds_bpermute_b32 v17, v3, v12
	s_waitcnt lgkmcnt(2)
	ds_bpermute_b32 v18, v3, v15
	ds_bpermute_b32 v19, v3, v14
	s_waitcnt lgkmcnt(3)
	v_cndmask_b32_e64 v16, v16, 0, vcc
	v_add_u32_e32 v13, v16, v13
	ds_bpermute_b32 v16, v4, v13
	s_waitcnt lgkmcnt(3)
	v_cndmask_b32_e64 v17, v17, 0, vcc
	v_add_u32_e32 v12, v17, v12
	ds_bpermute_b32 v17, v4, v12
	s_waitcnt lgkmcnt(3)
	v_cndmask_b32_e64 v18, v18, 0, vcc
	s_waitcnt lgkmcnt(1)
	v_cndmask_b32_e64 v16, v16, 0, s[2:3]
	v_add_u32_e32 v13, v16, v13
	ds_bpermute_b32 v16, v8, v13
	v_add_u32_e32 v15, v18, v15
	s_waitcnt lgkmcnt(1)
	v_cndmask_b32_e64 v17, v17, 0, s[2:3]
	ds_bpermute_b32 v18, v4, v15
	v_add_u32_e32 v12, v17, v12
	s_waitcnt lgkmcnt(1)
	v_cndmask_b32_e64 v16, v16, 0, s[4:5]
	ds_bpermute_b32 v17, v8, v12
	v_add_u32_e32 v13, v16, v13
	ds_bpermute_b32 v16, v9, v13
	v_cndmask_b32_e64 v19, v19, 0, vcc
	v_add_u32_e32 v14, v19, v14
	s_waitcnt lgkmcnt(2)
	v_cndmask_b32_e64 v18, v18, 0, s[2:3]
	ds_bpermute_b32 v19, v4, v14
	v_add_u32_e32 v15, v18, v15
	s_waitcnt lgkmcnt(2)
	v_cndmask_b32_e64 v17, v17, 0, s[4:5]
	ds_bpermute_b32 v18, v8, v15
	;; [unrolled: 4-line block ×3, first 2 shown]
	v_add_u32_e32 v13, v16, v13
	ds_bpermute_b32 v16, v10, v13
	s_waitcnt lgkmcnt(3)
	v_cndmask_b32_e64 v19, v19, 0, s[2:3]
	v_add_u32_e32 v14, v19, v14
	s_waitcnt lgkmcnt(2)
	v_cndmask_b32_e64 v18, v18, 0, s[4:5]
	ds_bpermute_b32 v19, v8, v14
	v_add_u32_e32 v15, v18, v15
	s_waitcnt lgkmcnt(2)
	v_cndmask_b32_e64 v17, v17, 0, s[8:9]
	ds_bpermute_b32 v18, v9, v15
	;; [unrolled: 4-line block ×3, first 2 shown]
	v_add3_u32 v13, v16, v13, v5
	ds_bpermute_b32 v5, v2, v13
	s_waitcnt lgkmcnt(3)
	v_cndmask_b32_e64 v19, v19, 0, s[4:5]
	v_add_u32_e32 v14, v19, v14
	s_waitcnt lgkmcnt(2)
	v_cndmask_b32_e64 v16, v18, 0, s[8:9]
	ds_bpermute_b32 v19, v9, v14
	v_add_u32_e32 v15, v16, v15
	s_waitcnt lgkmcnt(2)
	v_cndmask_b32_e64 v17, v17, 0, s[10:11]
	ds_bpermute_b32 v16, v10, v15
	s_waitcnt lgkmcnt(2)
	v_add3_u32 v12, v17, v12, v5
	ds_bpermute_b32 v5, v2, v12
	s_waitcnt lgkmcnt(2)
	v_cndmask_b32_e64 v17, v19, 0, s[8:9]
	v_add_u32_e32 v14, v17, v14
	s_waitcnt lgkmcnt(1)
	v_cndmask_b32_e64 v16, v16, 0, s[10:11]
	ds_bpermute_b32 v17, v10, v14
	s_waitcnt lgkmcnt(1)
	v_add3_u32 v15, v16, v15, v5
	ds_bpermute_b32 v5, v2, v15
	s_waitcnt lgkmcnt(1)
	v_cndmask_b32_e64 v16, v17, 0, s[10:11]
	s_waitcnt lgkmcnt(0)
	v_add3_u32 v14, v16, v14, v5
	ds_bpermute_b32 v5, v2, v14
	ds_write2_b32 v11, v12, v13 offset0:64 offset1:96
	ds_write2_b32 v11, v14, v15 offset1:32
	s_cbranch_scc1 .LBB1_8
.LBB1_9:
	s_or_b64 exec, exec, s[26:27]
	s_lshl_b64 s[2:3], s[24:25], 2
	s_add_u32 s4, s22, s2
	s_addc_u32 s5, s23, s3
	s_lshl_b64 s[2:3], s[6:7], 2
	s_add_u32 s2, s4, s2
	s_addc_u32 s3, s5, s3
	v_cmp_eq_u32_e32 vcc, 0, v0
	s_and_saveexec_b64 s[4:5], vcc
	s_cbranch_execz .LBB1_11
; %bb.10:
	v_mov_b32_e32 v2, 0
	global_store_dword v2, v2, s[2:3]
.LBB1_11:
	s_or_b64 exec, exec, s[4:5]
	s_waitcnt lgkmcnt(0)
	s_barrier
	s_and_saveexec_b64 s[4:5], s[0:1]
	s_cbranch_execz .LBB1_18
; %bb.12:
	s_ashr_i32 s0, s15, 31
	s_mul_hi_u32 s1, s28, s15
	s_mul_i32 s0, s28, s0
	s_add_i32 s0, s1, s0
	s_mul_i32 s29, s29, s15
	s_add_i32 s1, s0, s29
	s_mul_i32 s0, s28, s15
	s_lshl_b64 s[0:1], s[0:1], 2
	s_add_u32 s8, s20, s0
	s_addc_u32 s9, s21, s1
	s_add_i32 s0, s31, s30
	s_add_i32 s17, s0, s33
	s_lshl_b64 s[0:1], s[16:17], 2
	s_add_u32 s0, s12, s0
	s_addc_u32 s1, s13, s1
	v_mov_b32_e32 v3, s1
	v_add_co_u32_e32 v2, vcc, s0, v7
	v_mov_b32_e32 v8, 0
	v_addc_co_u32_e32 v3, vcc, 0, v3, vcc
	s_mov_b64 s[4:5], 0
	v_mov_b32_e32 v7, 1
	v_mov_b32_e32 v9, 0x7ff
	s_branch .LBB1_14
.LBB1_13:                               ;   in Loop: Header=BB1_14 Depth=1
	s_or_b64 exec, exec, s[0:1]
	v_add_co_u32_e32 v0, vcc, 0x100, v0
	v_addc_co_u32_e32 v1, vcc, 0, v1, vcc
	v_add_co_u32_e32 v2, vcc, 0x400, v2
	v_cmp_le_u64_e64 s[0:1], s[18:19], v[0:1]
	s_or_b64 s[4:5], s[0:1], s[4:5]
	v_addc_co_u32_e32 v3, vcc, 0, v3, vcc
	s_andn2_b64 exec, exec, s[4:5]
	s_cbranch_execz .LBB1_18
.LBB1_14:                               ; =>This Inner Loop Header: Depth=1
	global_load_dword v4, v[2:3], off
	s_waitcnt vmcnt(0)
	v_cmp_lt_f32_e32 vcc, s14, v4
	s_and_saveexec_b64 s[0:1], vcc
	s_cbranch_execz .LBB1_13
; %bb.15:                               ;   in Loop: Header=BB1_14 Depth=1
	v_subrev_f32_e32 v4, s14, v4
	v_div_scale_f32 v5, s[6:7], v6, v6, v4
	v_rcp_f32_e32 v10, v5
	v_div_scale_f32 v11, vcc, v4, v6, v4
	v_fma_f32 v12, -v5, v10, 1.0
	v_fmac_f32_e32 v10, v12, v10
	v_mul_f32_e32 v12, v11, v10
	v_fma_f32 v13, -v5, v12, v11
	v_fmac_f32_e32 v12, v13, v10
	v_fma_f32 v5, -v5, v12, v11
	v_div_fmas_f32 v5, v5, v10, v12
	v_div_fixup_f32 v4, v5, v6, v4
	v_mul_f32_e32 v4, 0x45000000, v4
	v_cvt_i32_f32_e32 v4, v4
	v_med3_i32 v4, v4, 0, v9
	v_lshlrev_b32_e32 v4, 2, v4
	ds_add_rtn_u32 v4, v4, v7
	s_waitcnt lgkmcnt(0)
	v_cmp_gt_i32_e32 vcc, s15, v4
	s_and_b64 exec, exec, vcc
	s_cbranch_execz .LBB1_13
; %bb.16:                               ;   in Loop: Header=BB1_14 Depth=1
	v_ashrrev_i32_e32 v5, 31, v4
	v_lshlrev_b64 v[4:5], 2, v[4:5]
	v_mov_b32_e32 v10, s9
	v_add_co_u32_e32 v4, vcc, s8, v4
	s_mov_b64 s[6:7], exec
	v_addc_co_u32_e32 v5, vcc, v10, v5, vcc
	global_store_dword v[4:5], v0, off
	v_mbcnt_lo_u32_b32 v4, s6, 0
	v_mbcnt_hi_u32_b32 v4, s7, v4
	v_cmp_eq_u32_e32 vcc, 0, v4
	s_and_b64 s[10:11], exec, vcc
	s_mov_b64 exec, s[10:11]
	s_cbranch_execz .LBB1_13
; %bb.17:                               ;   in Loop: Header=BB1_14 Depth=1
	s_bcnt1_i32_b64 s6, s[6:7]
	v_mov_b32_e32 v4, s6
	global_atomic_add v8, v4, s[2:3]
	s_branch .LBB1_13
.LBB1_18:
	s_endpgm
	.section	.rodata,"a",@progbits
	.p2align	6, 0x0
	.amdhsa_kernel _Z8findTopKIfLi2048ELi256ELi32EEvPiS0_PKT_fimm
		.amdhsa_group_segment_fixed_size 8192
		.amdhsa_private_segment_fixed_size 0
		.amdhsa_kernarg_size 48
		.amdhsa_user_sgpr_count 6
		.amdhsa_user_sgpr_private_segment_buffer 1
		.amdhsa_user_sgpr_dispatch_ptr 0
		.amdhsa_user_sgpr_queue_ptr 0
		.amdhsa_user_sgpr_kernarg_segment_ptr 1
		.amdhsa_user_sgpr_dispatch_id 0
		.amdhsa_user_sgpr_flat_scratch_init 0
		.amdhsa_user_sgpr_kernarg_preload_length 0
		.amdhsa_user_sgpr_kernarg_preload_offset 0
		.amdhsa_user_sgpr_private_segment_size 0
		.amdhsa_uses_dynamic_stack 0
		.amdhsa_system_sgpr_private_segment_wavefront_offset 0
		.amdhsa_system_sgpr_workgroup_id_x 1
		.amdhsa_system_sgpr_workgroup_id_y 1
		.amdhsa_system_sgpr_workgroup_id_z 0
		.amdhsa_system_sgpr_workgroup_info 0
		.amdhsa_system_vgpr_workitem_id 0
		.amdhsa_next_free_vgpr 20
		.amdhsa_next_free_sgpr 34
		.amdhsa_accum_offset 20
		.amdhsa_reserve_vcc 1
		.amdhsa_reserve_flat_scratch 0
		.amdhsa_float_round_mode_32 0
		.amdhsa_float_round_mode_16_64 0
		.amdhsa_float_denorm_mode_32 3
		.amdhsa_float_denorm_mode_16_64 3
		.amdhsa_dx10_clamp 1
		.amdhsa_ieee_mode 1
		.amdhsa_fp16_overflow 0
		.amdhsa_tg_split 0
		.amdhsa_exception_fp_ieee_invalid_op 0
		.amdhsa_exception_fp_denorm_src 0
		.amdhsa_exception_fp_ieee_div_zero 0
		.amdhsa_exception_fp_ieee_overflow 0
		.amdhsa_exception_fp_ieee_underflow 0
		.amdhsa_exception_fp_ieee_inexact 0
		.amdhsa_exception_int_div_zero 0
	.end_amdhsa_kernel
	.section	.text._Z8findTopKIfLi2048ELi256ELi32EEvPiS0_PKT_fimm,"axG",@progbits,_Z8findTopKIfLi2048ELi256ELi32EEvPiS0_PKT_fimm,comdat
.Lfunc_end1:
	.size	_Z8findTopKIfLi2048ELi256ELi32EEvPiS0_PKT_fimm, .Lfunc_end1-_Z8findTopKIfLi2048ELi256ELi32EEvPiS0_PKT_fimm
                                        ; -- End function
	.section	.AMDGPU.csdata,"",@progbits
; Kernel info:
; codeLenInByte = 1664
; NumSgprs: 38
; NumVgprs: 20
; NumAgprs: 0
; TotalNumVgprs: 20
; ScratchSize: 0
; MemoryBound: 0
; FloatMode: 240
; IeeeMode: 1
; LDSByteSize: 8192 bytes/workgroup (compile time only)
; SGPRBlocks: 4
; VGPRBlocks: 2
; NumSGPRsForWavesPerEU: 38
; NumVGPRsForWavesPerEU: 20
; AccumOffset: 20
; Occupancy: 8
; WaveLimiterHint : 0
; COMPUTE_PGM_RSRC2:SCRATCH_EN: 0
; COMPUTE_PGM_RSRC2:USER_SGPR: 6
; COMPUTE_PGM_RSRC2:TRAP_HANDLER: 0
; COMPUTE_PGM_RSRC2:TGID_X_EN: 1
; COMPUTE_PGM_RSRC2:TGID_Y_EN: 1
; COMPUTE_PGM_RSRC2:TGID_Z_EN: 0
; COMPUTE_PGM_RSRC2:TIDIG_COMP_CNT: 0
; COMPUTE_PGM_RSRC3_GFX90A:ACCUM_OFFSET: 4
; COMPUTE_PGM_RSRC3_GFX90A:TG_SPLIT: 0
	.text
	.p2alignl 6, 3212836864
	.fill 256, 4, 3212836864
	.type	__hip_cuid_1d9613fcd1b7f42f,@object ; @__hip_cuid_1d9613fcd1b7f42f
	.section	.bss,"aw",@nobits
	.globl	__hip_cuid_1d9613fcd1b7f42f
__hip_cuid_1d9613fcd1b7f42f:
	.byte	0                               ; 0x0
	.size	__hip_cuid_1d9613fcd1b7f42f, 1

	.ident	"AMD clang version 19.0.0git (https://github.com/RadeonOpenCompute/llvm-project roc-6.4.0 25133 c7fe45cf4b819c5991fe208aaa96edf142730f1d)"
	.section	".note.GNU-stack","",@progbits
	.addrsig
	.addrsig_sym __hip_cuid_1d9613fcd1b7f42f
	.amdgpu_metadata
---
amdhsa.kernels:
  - .agpr_count:     0
    .args:
      - .actual_access:  write_only
        .address_space:  global
        .offset:         0
        .size:           8
        .value_kind:     global_buffer
      - .address_space:  global
        .offset:         8
        .size:           8
        .value_kind:     global_buffer
      - .actual_access:  read_only
        .address_space:  global
        .offset:         16
        .size:           8
        .value_kind:     global_buffer
      - .offset:         24
        .size:           4
        .value_kind:     by_value
      - .offset:         28
        .size:           4
        .value_kind:     by_value
      - .offset:         32
        .size:           8
        .value_kind:     by_value
      - .offset:         40
        .size:           8
        .value_kind:     by_value
    .group_segment_fixed_size: 8192
    .kernarg_segment_align: 8
    .kernarg_segment_size: 48
    .language:       OpenCL C
    .language_version:
      - 2
      - 0
    .max_flat_workgroup_size: 256
    .name:           _Z8findTopKIfLi2048ELi256ELi64EEvPiS0_PKT_fimm
    .private_segment_fixed_size: 0
    .sgpr_count:     40
    .sgpr_spill_count: 0
    .symbol:         _Z8findTopKIfLi2048ELi256ELi64EEvPiS0_PKT_fimm.kd
    .uniform_work_group_size: 1
    .uses_dynamic_stack: false
    .vgpr_count:     30
    .vgpr_spill_count: 0
    .wavefront_size: 64
  - .agpr_count:     0
    .args:
      - .actual_access:  write_only
        .address_space:  global
        .offset:         0
        .size:           8
        .value_kind:     global_buffer
      - .address_space:  global
        .offset:         8
        .size:           8
        .value_kind:     global_buffer
      - .actual_access:  read_only
        .address_space:  global
        .offset:         16
        .size:           8
        .value_kind:     global_buffer
      - .offset:         24
        .size:           4
        .value_kind:     by_value
      - .offset:         28
        .size:           4
        .value_kind:     by_value
      - .offset:         32
        .size:           8
        .value_kind:     by_value
      - .offset:         40
        .size:           8
        .value_kind:     by_value
    .group_segment_fixed_size: 8192
    .kernarg_segment_align: 8
    .kernarg_segment_size: 48
    .language:       OpenCL C
    .language_version:
      - 2
      - 0
    .max_flat_workgroup_size: 256
    .name:           _Z8findTopKIfLi2048ELi256ELi32EEvPiS0_PKT_fimm
    .private_segment_fixed_size: 0
    .sgpr_count:     38
    .sgpr_spill_count: 0
    .symbol:         _Z8findTopKIfLi2048ELi256ELi32EEvPiS0_PKT_fimm.kd
    .uniform_work_group_size: 1
    .uses_dynamic_stack: false
    .vgpr_count:     20
    .vgpr_spill_count: 0
    .wavefront_size: 64
amdhsa.target:   amdgcn-amd-amdhsa--gfx90a
amdhsa.version:
  - 1
  - 2
...

	.end_amdgpu_metadata
